;; amdgpu-corpus repo=ROCm/rocFFT kind=compiled arch=gfx1030 opt=O3
	.text
	.amdgcn_target "amdgcn-amd-amdhsa--gfx1030"
	.amdhsa_code_object_version 6
	.protected	fft_rtc_fwd_len390_factors_13_3_10_wgs_117_tpt_39_sp_op_CI_CI_unitstride_sbrr_C2R_dirReg ; -- Begin function fft_rtc_fwd_len390_factors_13_3_10_wgs_117_tpt_39_sp_op_CI_CI_unitstride_sbrr_C2R_dirReg
	.globl	fft_rtc_fwd_len390_factors_13_3_10_wgs_117_tpt_39_sp_op_CI_CI_unitstride_sbrr_C2R_dirReg
	.p2align	8
	.type	fft_rtc_fwd_len390_factors_13_3_10_wgs_117_tpt_39_sp_op_CI_CI_unitstride_sbrr_C2R_dirReg,@function
fft_rtc_fwd_len390_factors_13_3_10_wgs_117_tpt_39_sp_op_CI_CI_unitstride_sbrr_C2R_dirReg: ; @fft_rtc_fwd_len390_factors_13_3_10_wgs_117_tpt_39_sp_op_CI_CI_unitstride_sbrr_C2R_dirReg
; %bb.0:
	s_load_dwordx4 s[12:15], s[4:5], 0x0
	v_mul_u32_u24_e32 v1, 0x691, v0
	s_clause 0x1
	s_load_dwordx4 s[8:11], s[4:5], 0x58
	s_load_dwordx4 s[16:19], s[4:5], 0x18
	v_mov_b32_e32 v5, 0
	v_lshrrev_b32_e32 v3, 16, v1
	v_mov_b32_e32 v1, 0
	v_mov_b32_e32 v2, 0
	v_mad_u64_u32 v[3:4], null, s6, 3, v[3:4]
	v_mov_b32_e32 v4, v5
	v_mov_b32_e32 v25, v2
	;; [unrolled: 1-line block ×5, first 2 shown]
	s_waitcnt lgkmcnt(0)
	v_cmp_lt_u64_e64 s0, s[14:15], 2
	s_and_b32 vcc_lo, exec_lo, s0
	s_cbranch_vccnz .LBB0_8
; %bb.1:
	s_load_dwordx2 s[0:1], s[4:5], 0x10
	v_mov_b32_e32 v1, 0
	v_mov_b32_e32 v2, 0
	s_add_u32 s2, s18, 8
	v_mov_b32_e32 v8, v4
	s_addc_u32 s3, s19, 0
	v_mov_b32_e32 v7, v3
	v_mov_b32_e32 v25, v2
	s_add_u32 s6, s16, 8
	v_mov_b32_e32 v24, v1
	s_addc_u32 s7, s17, 0
	s_mov_b64 s[22:23], 1
	s_waitcnt lgkmcnt(0)
	s_add_u32 s20, s0, 8
	s_addc_u32 s21, s1, 0
.LBB0_2:                                ; =>This Inner Loop Header: Depth=1
	s_load_dwordx2 s[24:25], s[20:21], 0x0
                                        ; implicit-def: $vgpr26_vgpr27
	s_mov_b32 s0, exec_lo
	s_waitcnt lgkmcnt(0)
	v_or_b32_e32 v6, s25, v8
	v_cmpx_ne_u64_e32 0, v[5:6]
	s_xor_b32 s1, exec_lo, s0
	s_cbranch_execz .LBB0_4
; %bb.3:                                ;   in Loop: Header=BB0_2 Depth=1
	v_cvt_f32_u32_e32 v4, s24
	v_cvt_f32_u32_e32 v6, s25
	s_sub_u32 s0, 0, s24
	s_subb_u32 s26, 0, s25
	v_fmac_f32_e32 v4, 0x4f800000, v6
	v_rcp_f32_e32 v4, v4
	v_mul_f32_e32 v4, 0x5f7ffffc, v4
	v_mul_f32_e32 v6, 0x2f800000, v4
	v_trunc_f32_e32 v6, v6
	v_fmac_f32_e32 v4, 0xcf800000, v6
	v_cvt_u32_f32_e32 v6, v6
	v_cvt_u32_f32_e32 v4, v4
	v_mul_lo_u32 v9, s0, v6
	v_mul_hi_u32 v10, s0, v4
	v_mul_lo_u32 v11, s26, v4
	v_add_nc_u32_e32 v9, v10, v9
	v_mul_lo_u32 v10, s0, v4
	v_add_nc_u32_e32 v9, v9, v11
	v_mul_hi_u32 v11, v4, v10
	v_mul_lo_u32 v12, v4, v9
	v_mul_hi_u32 v13, v4, v9
	v_mul_hi_u32 v14, v6, v10
	v_mul_lo_u32 v10, v6, v10
	v_mul_hi_u32 v15, v6, v9
	v_mul_lo_u32 v9, v6, v9
	v_add_co_u32 v11, vcc_lo, v11, v12
	v_add_co_ci_u32_e32 v12, vcc_lo, 0, v13, vcc_lo
	v_add_co_u32 v10, vcc_lo, v11, v10
	v_add_co_ci_u32_e32 v10, vcc_lo, v12, v14, vcc_lo
	v_add_co_ci_u32_e32 v11, vcc_lo, 0, v15, vcc_lo
	v_add_co_u32 v9, vcc_lo, v10, v9
	v_add_co_ci_u32_e32 v10, vcc_lo, 0, v11, vcc_lo
	v_add_co_u32 v4, vcc_lo, v4, v9
	v_add_co_ci_u32_e32 v6, vcc_lo, v6, v10, vcc_lo
	v_mul_hi_u32 v9, s0, v4
	v_mul_lo_u32 v11, s26, v4
	v_mul_lo_u32 v10, s0, v6
	v_add_nc_u32_e32 v9, v9, v10
	v_mul_lo_u32 v10, s0, v4
	v_add_nc_u32_e32 v9, v9, v11
	v_mul_hi_u32 v11, v4, v10
	v_mul_lo_u32 v12, v4, v9
	v_mul_hi_u32 v13, v4, v9
	v_mul_hi_u32 v14, v6, v10
	v_mul_lo_u32 v10, v6, v10
	v_mul_hi_u32 v15, v6, v9
	v_mul_lo_u32 v9, v6, v9
	v_add_co_u32 v11, vcc_lo, v11, v12
	v_add_co_ci_u32_e32 v12, vcc_lo, 0, v13, vcc_lo
	v_add_co_u32 v10, vcc_lo, v11, v10
	v_add_co_ci_u32_e32 v10, vcc_lo, v12, v14, vcc_lo
	v_add_co_ci_u32_e32 v11, vcc_lo, 0, v15, vcc_lo
	v_add_co_u32 v9, vcc_lo, v10, v9
	v_add_co_ci_u32_e32 v10, vcc_lo, 0, v11, vcc_lo
	v_add_co_u32 v4, vcc_lo, v4, v9
	v_add_co_ci_u32_e32 v6, vcc_lo, v6, v10, vcc_lo
	v_mul_hi_u32 v15, v7, v4
	v_mad_u64_u32 v[11:12], null, v8, v4, 0
	v_mad_u64_u32 v[9:10], null, v7, v6, 0
	;; [unrolled: 1-line block ×3, first 2 shown]
	v_add_co_u32 v4, vcc_lo, v15, v9
	v_add_co_ci_u32_e32 v6, vcc_lo, 0, v10, vcc_lo
	v_add_co_u32 v4, vcc_lo, v4, v11
	v_add_co_ci_u32_e32 v4, vcc_lo, v6, v12, vcc_lo
	v_add_co_ci_u32_e32 v6, vcc_lo, 0, v14, vcc_lo
	v_add_co_u32 v4, vcc_lo, v4, v13
	v_add_co_ci_u32_e32 v6, vcc_lo, 0, v6, vcc_lo
	v_mul_lo_u32 v11, s25, v4
	v_mad_u64_u32 v[9:10], null, s24, v4, 0
	v_mul_lo_u32 v12, s24, v6
	v_sub_co_u32 v9, vcc_lo, v7, v9
	v_add3_u32 v10, v10, v12, v11
	v_sub_nc_u32_e32 v11, v8, v10
	v_subrev_co_ci_u32_e64 v11, s0, s25, v11, vcc_lo
	v_add_co_u32 v12, s0, v4, 2
	v_add_co_ci_u32_e64 v13, s0, 0, v6, s0
	v_sub_co_u32 v14, s0, v9, s24
	v_sub_co_ci_u32_e32 v10, vcc_lo, v8, v10, vcc_lo
	v_subrev_co_ci_u32_e64 v11, s0, 0, v11, s0
	v_cmp_le_u32_e32 vcc_lo, s24, v14
	v_cmp_eq_u32_e64 s0, s25, v10
	v_cndmask_b32_e64 v14, 0, -1, vcc_lo
	v_cmp_le_u32_e32 vcc_lo, s25, v11
	v_cndmask_b32_e64 v15, 0, -1, vcc_lo
	v_cmp_le_u32_e32 vcc_lo, s24, v9
	;; [unrolled: 2-line block ×3, first 2 shown]
	v_cndmask_b32_e64 v16, 0, -1, vcc_lo
	v_cmp_eq_u32_e32 vcc_lo, s25, v11
	v_cndmask_b32_e64 v9, v16, v9, s0
	v_cndmask_b32_e32 v11, v15, v14, vcc_lo
	v_add_co_u32 v14, vcc_lo, v4, 1
	v_add_co_ci_u32_e32 v15, vcc_lo, 0, v6, vcc_lo
	v_cmp_ne_u32_e32 vcc_lo, 0, v11
	v_cndmask_b32_e32 v10, v15, v13, vcc_lo
	v_cndmask_b32_e32 v11, v14, v12, vcc_lo
	v_cmp_ne_u32_e32 vcc_lo, 0, v9
	v_cndmask_b32_e32 v27, v6, v10, vcc_lo
	v_cndmask_b32_e32 v26, v4, v11, vcc_lo
.LBB0_4:                                ;   in Loop: Header=BB0_2 Depth=1
	s_andn2_saveexec_b32 s0, s1
	s_cbranch_execz .LBB0_6
; %bb.5:                                ;   in Loop: Header=BB0_2 Depth=1
	v_cvt_f32_u32_e32 v4, s24
	s_sub_i32 s1, 0, s24
	v_mov_b32_e32 v27, v5
	v_rcp_iflag_f32_e32 v4, v4
	v_mul_f32_e32 v4, 0x4f7ffffe, v4
	v_cvt_u32_f32_e32 v4, v4
	v_mul_lo_u32 v6, s1, v4
	v_mul_hi_u32 v6, v4, v6
	v_add_nc_u32_e32 v4, v4, v6
	v_mul_hi_u32 v4, v7, v4
	v_mul_lo_u32 v6, v4, s24
	v_add_nc_u32_e32 v9, 1, v4
	v_sub_nc_u32_e32 v6, v7, v6
	v_subrev_nc_u32_e32 v10, s24, v6
	v_cmp_le_u32_e32 vcc_lo, s24, v6
	v_cndmask_b32_e32 v6, v6, v10, vcc_lo
	v_cndmask_b32_e32 v4, v4, v9, vcc_lo
	v_cmp_le_u32_e32 vcc_lo, s24, v6
	v_add_nc_u32_e32 v9, 1, v4
	v_cndmask_b32_e32 v26, v4, v9, vcc_lo
.LBB0_6:                                ;   in Loop: Header=BB0_2 Depth=1
	s_or_b32 exec_lo, exec_lo, s0
	v_mul_lo_u32 v4, v27, s24
	v_mul_lo_u32 v6, v26, s25
	s_load_dwordx2 s[0:1], s[6:7], 0x0
	v_mad_u64_u32 v[9:10], null, v26, s24, 0
	s_load_dwordx2 s[24:25], s[2:3], 0x0
	s_add_u32 s22, s22, 1
	s_addc_u32 s23, s23, 0
	s_add_u32 s2, s2, 8
	s_addc_u32 s3, s3, 0
	s_add_u32 s6, s6, 8
	v_add3_u32 v4, v10, v6, v4
	v_sub_co_u32 v6, vcc_lo, v7, v9
	s_addc_u32 s7, s7, 0
	s_add_u32 s20, s20, 8
	v_sub_co_ci_u32_e32 v4, vcc_lo, v8, v4, vcc_lo
	s_addc_u32 s21, s21, 0
	s_waitcnt lgkmcnt(0)
	v_mul_lo_u32 v7, s0, v4
	v_mul_lo_u32 v8, s1, v6
	v_mad_u64_u32 v[1:2], null, s0, v6, v[1:2]
	v_mul_lo_u32 v4, s24, v4
	v_mul_lo_u32 v9, s25, v6
	v_mad_u64_u32 v[24:25], null, s24, v6, v[24:25]
	v_cmp_ge_u64_e64 s0, s[22:23], s[14:15]
	v_add3_u32 v2, v8, v2, v7
	v_add3_u32 v25, v9, v25, v4
	s_and_b32 vcc_lo, exec_lo, s0
	s_cbranch_vccnz .LBB0_8
; %bb.7:                                ;   in Loop: Header=BB0_2 Depth=1
	v_mov_b32_e32 v7, v26
	v_mov_b32_e32 v8, v27
	s_branch .LBB0_2
.LBB0_8:
	s_load_dwordx2 s[0:1], s[4:5], 0x28
	v_mul_hi_u32 v4, 0xaaaaaaab, v3
	s_lshl_b64 s[4:5], s[14:15], 3
                                        ; implicit-def: $vgpr28
	s_add_u32 s2, s18, s4
	s_addc_u32 s3, s19, s5
	v_lshrrev_b32_e32 v4, 1, v4
	v_lshl_add_u32 v5, v4, 1, v4
	v_mul_hi_u32 v4, 0x6906907, v0
	v_sub_nc_u32_e32 v3, v3, v5
	s_waitcnt lgkmcnt(0)
	v_cmp_gt_u64_e32 vcc_lo, s[0:1], v[26:27]
	v_cmp_le_u64_e64 s0, s[0:1], v[26:27]
	s_and_saveexec_b32 s1, s0
	s_xor_b32 s0, exec_lo, s1
; %bb.9:
	v_mul_u32_u24_e32 v1, 39, v4
                                        ; implicit-def: $vgpr4
	v_sub_nc_u32_e32 v28, v0, v1
                                        ; implicit-def: $vgpr0
                                        ; implicit-def: $vgpr1_vgpr2
; %bb.10:
	s_or_saveexec_b32 s1, s0
	s_load_dwordx2 s[2:3], s[2:3], 0x0
	v_mul_u32_u24_e32 v3, 0x187, v3
	v_lshlrev_b32_e32 v39, 3, v3
	s_xor_b32 exec_lo, exec_lo, s1
	s_cbranch_execz .LBB0_14
; %bb.11:
	s_add_u32 s4, s16, s4
	s_addc_u32 s5, s17, s5
	v_lshlrev_b64 v[1:2], 3, v[1:2]
	s_load_dwordx2 s[4:5], s[4:5], 0x0
	s_waitcnt lgkmcnt(0)
	v_mul_lo_u32 v7, s5, v26
	v_mul_lo_u32 v8, s4, v27
	v_mad_u64_u32 v[5:6], null, s4, v26, 0
	s_mov_b32 s4, exec_lo
	v_add3_u32 v6, v6, v8, v7
	v_mul_u32_u24_e32 v7, 39, v4
	v_lshlrev_b64 v[4:5], 3, v[5:6]
	v_sub_nc_u32_e32 v28, v0, v7
	v_lshlrev_b32_e32 v29, 3, v28
	v_add_co_u32 v0, s0, s8, v4
	v_add_co_ci_u32_e64 v4, s0, s9, v5, s0
	v_add_co_u32 v0, s0, v0, v1
	v_add_co_ci_u32_e64 v1, s0, v4, v2, s0
	v_add3_u32 v2, 0, v39, v29
	v_add_co_u32 v4, s0, v0, v29
	v_add_co_ci_u32_e64 v5, s0, 0, v1, s0
	v_add_nc_u32_e32 v29, 0x400, v2
	v_add_co_u32 v6, s0, 0x800, v4
	v_add_co_ci_u32_e64 v7, s0, 0, v5, s0
	s_clause 0x9
	global_load_dwordx2 v[8:9], v[4:5], off
	global_load_dwordx2 v[10:11], v[4:5], off offset:312
	global_load_dwordx2 v[12:13], v[4:5], off offset:624
	;; [unrolled: 1-line block ×9, first 2 shown]
	v_add_nc_u32_e32 v30, 0x800, v2
	s_waitcnt vmcnt(8)
	ds_write2_b64 v2, v[8:9], v[10:11] offset1:39
	s_waitcnt vmcnt(6)
	ds_write2_b64 v2, v[12:13], v[14:15] offset0:78 offset1:117
	s_waitcnt vmcnt(4)
	ds_write2_b64 v2, v[16:17], v[18:19] offset0:156 offset1:195
	;; [unrolled: 2-line block ×4, first 2 shown]
	v_cmpx_eq_u32_e32 38, v28
	s_cbranch_execz .LBB0_13
; %bb.12:
	v_add_co_u32 v0, s0, 0x800, v0
	v_add_co_ci_u32_e64 v1, s0, 0, v1, s0
	v_mov_b32_e32 v28, 38
	global_load_dwordx2 v[0:1], v[0:1], off offset:1072
	s_waitcnt vmcnt(0)
	ds_write_b64 v2, v[0:1] offset:2816
.LBB0_13:
	s_or_b32 exec_lo, exec_lo, s4
.LBB0_14:
	s_or_b32 exec_lo, exec_lo, s1
	v_lshl_add_u32 v37, v3, 3, 0
	v_lshlrev_b32_e32 v5, 3, v28
	s_waitcnt lgkmcnt(0)
	s_barrier
	buffer_gl0_inv
	s_add_u32 s1, s12, 0xbc8
	v_add_nc_u32_e32 v40, v37, v5
	v_sub_nc_u32_e32 v4, v37, v5
	s_addc_u32 s4, s13, 0
	s_mov_b32 s5, exec_lo
	ds_read_b32 v6, v40
	ds_read_b32 v7, v4 offset:3120
                                        ; implicit-def: $vgpr2_vgpr3
	s_waitcnt lgkmcnt(0)
	v_add_f32_e32 v0, v7, v6
	v_sub_f32_e32 v1, v6, v7
	v_cmpx_ne_u32_e32 0, v28
	s_xor_b32 s5, exec_lo, s5
	s_cbranch_execz .LBB0_16
; %bb.15:
	v_mov_b32_e32 v29, 0
	v_add_f32_e32 v8, v7, v6
	v_sub_f32_e32 v9, v6, v7
	v_lshlrev_b64 v[0:1], 3, v[28:29]
	v_add_co_u32 v0, s0, s1, v0
	v_add_co_ci_u32_e64 v1, s0, s4, v1, s0
	global_load_dwordx2 v[2:3], v[0:1], off
	ds_read_b32 v0, v4 offset:3124
	ds_read_b32 v1, v40 offset:4
	s_waitcnt lgkmcnt(0)
	v_add_f32_e32 v10, v0, v1
	v_sub_f32_e32 v0, v1, v0
	s_waitcnt vmcnt(0)
	v_fma_f32 v6, -v9, v3, v8
	v_fma_f32 v7, v10, v3, -v0
	v_fma_f32 v11, v9, v3, v8
	v_fma_f32 v1, v10, v3, v0
	v_fmac_f32_e32 v6, v2, v10
	v_fmac_f32_e32 v7, v9, v2
	v_fma_f32 v0, -v2, v10, v11
	v_fmac_f32_e32 v1, v9, v2
	v_mov_b32_e32 v2, v28
	v_mov_b32_e32 v3, v29
	ds_write_b64 v4, v[6:7] offset:3120
.LBB0_16:
	s_andn2_saveexec_b32 s0, s5
	s_cbranch_execz .LBB0_18
; %bb.17:
	ds_read_b64 v[2:3], v37 offset:1560
	s_waitcnt lgkmcnt(0)
	v_add_f32_e32 v6, v2, v2
	v_mul_f32_e32 v7, -2.0, v3
	v_mov_b32_e32 v2, 0
	v_mov_b32_e32 v3, 0
	ds_write_b64 v37, v[6:7] offset:1560
.LBB0_18:
	s_or_b32 exec_lo, exec_lo, s0
	v_lshlrev_b64 v[2:3], 3, v[2:3]
	v_add3_u32 v38, 0, v5, v39
	v_add_nc_u32_e32 v41, 0x800, v38
	v_add_co_u32 v2, s0, s1, v2
	v_add_co_ci_u32_e64 v3, s0, s4, v3, s0
	s_mov_b32 s1, exec_lo
	s_clause 0x3
	global_load_dwordx2 v[6:7], v[2:3], off offset:312
	global_load_dwordx2 v[8:9], v[2:3], off offset:624
	;; [unrolled: 1-line block ×4, first 2 shown]
	ds_write_b64 v40, v[0:1]
	ds_read_b64 v[0:1], v40 offset:312
	ds_read_b64 v[12:13], v4 offset:2808
	s_waitcnt lgkmcnt(0)
	v_add_f32_e32 v14, v0, v12
	v_add_f32_e32 v15, v13, v1
	v_sub_f32_e32 v16, v0, v12
	v_sub_f32_e32 v0, v1, v13
	s_waitcnt vmcnt(3)
	v_fma_f32 v17, v16, v7, v14
	v_fma_f32 v1, v15, v7, v0
	v_fma_f32 v12, -v16, v7, v14
	v_fma_f32 v13, v15, v7, -v0
	v_fma_f32 v0, -v6, v15, v17
	v_fmac_f32_e32 v1, v16, v6
	v_fmac_f32_e32 v12, v6, v15
	v_fmac_f32_e32 v13, v16, v6
	ds_write_b64 v40, v[0:1] offset:312
	ds_write_b64 v4, v[12:13] offset:2808
	ds_read_b64 v[0:1], v40 offset:624
	ds_read_b64 v[6:7], v4 offset:2496
	s_waitcnt lgkmcnt(0)
	v_add_f32_e32 v12, v0, v6
	v_add_f32_e32 v13, v7, v1
	v_sub_f32_e32 v14, v0, v6
	v_sub_f32_e32 v0, v1, v7
	s_waitcnt vmcnt(2)
	v_fma_f32 v15, v14, v9, v12
	v_fma_f32 v1, v13, v9, v0
	v_fma_f32 v6, -v14, v9, v12
	v_fma_f32 v7, v13, v9, -v0
	v_fma_f32 v0, -v8, v13, v15
	v_fmac_f32_e32 v1, v14, v8
	v_fmac_f32_e32 v6, v8, v13
	v_fmac_f32_e32 v7, v14, v8
	ds_write_b64 v40, v[0:1] offset:624
	ds_write_b64 v4, v[6:7] offset:2496
	;; [unrolled: 18-line block ×4, first 2 shown]
	s_waitcnt lgkmcnt(0)
	s_barrier
	buffer_gl0_inv
	s_barrier
	buffer_gl0_inv
	ds_read2_b64 v[20:23], v38 offset0:30 offset1:60
	ds_read2_b64 v[0:3], v41 offset0:74 offset1:104
	;; [unrolled: 1-line block ×6, first 2 shown]
	ds_read_b64 v[35:36], v40
	s_waitcnt lgkmcnt(0)
	s_barrier
	buffer_gl0_inv
	v_sub_f32_e32 v58, v20, v2
	v_sub_f32_e32 v54, v21, v3
	v_add_f32_e32 v42, v2, v20
	v_add_f32_e32 v43, v3, v21
	v_sub_f32_e32 v60, v22, v0
	v_sub_f32_e32 v55, v23, v1
	v_mul_f32_e32 v74, 0xbf52af12, v54
	v_mul_f32_e32 v77, 0xbf52af12, v58
	;; [unrolled: 1-line block ×6, first 2 shown]
	v_add_f32_e32 v44, v0, v22
	v_add_f32_e32 v45, v1, v23
	v_sub_f32_e32 v62, v16, v6
	v_sub_f32_e32 v56, v17, v7
	v_mul_f32_e32 v72, 0xbf6f5d39, v55
	v_mul_f32_e32 v76, 0xbf6f5d39, v60
	;; [unrolled: 1-line block ×6, first 2 shown]
	v_fmamk_f32 v29, v42, 0x3f116cb1, v74
	v_fma_f32 v30, 0x3f116cb1, v43, -v77
	v_fmamk_f32 v108, v42, 0x3df6dbef, v83
	v_fma_f32 v110, 0x3df6dbef, v43, -v89
	;; [unrolled: 2-line block ×3, first 2 shown]
	v_add_f32_e32 v46, v6, v16
	v_add_f32_e32 v47, v7, v17
	v_sub_f32_e32 v61, v18, v4
	v_sub_f32_e32 v57, v19, v5
	v_mul_f32_e32 v70, 0xbe750f2a, v56
	v_mul_f32_e32 v75, 0xbe750f2a, v62
	v_mul_f32_e32 v82, 0x3f6f5d39, v56
	v_mul_f32_e32 v87, 0x3f6f5d39, v62
	v_mul_f32_e32 v95, 0x3eedf032, v56
	v_mul_f32_e32 v99, 0x3eedf032, v62
	v_fmamk_f32 v31, v44, 0xbeb58ec6, v72
	v_fma_f32 v32, 0xbeb58ec6, v45, -v76
	v_fmamk_f32 v109, v44, 0xbf788fa5, v81
	v_fma_f32 v111, 0xbf788fa5, v45, -v88
	v_fmamk_f32 v121, v44, 0xbf3f9e67, v94
	v_fma_f32 v123, 0xbf3f9e67, v45, -v100
	v_add_f32_e32 v29, v35, v29
	v_add_f32_e32 v30, v36, v30
	v_add_f32_e32 v108, v35, v108
	v_add_f32_e32 v110, v36, v110
	v_add_f32_e32 v120, v35, v120
	v_add_f32_e32 v122, v36, v122
	v_add_f32_e32 v48, v4, v18
	v_add_f32_e32 v49, v5, v19
	v_sub_f32_e32 v59, v13, v11
	v_sub_f32_e32 v64, v12, v10
	v_mul_f32_e32 v68, 0x3f29c268, v57
	v_mul_f32_e32 v73, 0x3f29c268, v61
	v_mul_f32_e32 v80, 0x3eedf032, v57
	v_mul_f32_e32 v86, 0x3eedf032, v61
	v_mul_f32_e32 v92, 0xbf7e222b, v57
	v_mul_f32_e32 v98, 0xbf7e222b, v61
	v_fmamk_f32 v33, v46, 0xbf788fa5, v70
	v_fma_f32 v34, 0xbf788fa5, v47, -v75
	v_fmamk_f32 v112, v46, 0xbeb58ec6, v82
	v_fma_f32 v113, 0xbeb58ec6, v47, -v87
	v_fmamk_f32 v124, v46, 0x3f62ad3f, v95
	v_fma_f32 v125, 0x3f62ad3f, v47, -v99
	v_add_f32_e32 v29, v31, v29
	v_add_f32_e32 v30, v32, v30
	v_add_f32_e32 v31, v109, v108
	v_add_f32_e32 v32, v111, v110
	v_add_f32_e32 v108, v121, v120
	v_add_f32_e32 v109, v123, v122
	v_add_f32_e32 v50, v10, v12
	v_add_f32_e32 v51, v11, v13
	v_sub_f32_e32 v63, v15, v9
	v_sub_f32_e32 v65, v14, v8
	v_mul_f32_e32 v67, 0x3f7e222b, v59
	v_mul_f32_e32 v71, 0x3f7e222b, v64
	v_mul_f32_e32 v79, 0xbf52af12, v59
	v_mul_f32_e32 v85, 0xbf52af12, v64
	v_mul_f32_e32 v91, 0x3e750f2a, v59
	v_mul_f32_e32 v97, 0x3e750f2a, v64
	v_fmamk_f32 v102, v48, 0xbf3f9e67, v68
	v_fma_f32 v103, 0xbf3f9e67, v49, -v73
	v_fmamk_f32 v114, v48, 0x3f62ad3f, v80
	v_fma_f32 v115, 0x3f62ad3f, v49, -v86
	v_fmamk_f32 v126, v48, 0x3df6dbef, v92
	v_fma_f32 v127, 0x3df6dbef, v49, -v98
	v_add_f32_e32 v29, v33, v29
	v_add_f32_e32 v30, v34, v30
	v_add_f32_e32 v31, v112, v31
	v_add_f32_e32 v32, v113, v32
	v_add_f32_e32 v33, v124, v108
	v_add_f32_e32 v34, v125, v109
	v_add_f32_e32 v52, v8, v14
	v_add_f32_e32 v53, v9, v15
	v_mul_f32_e32 v66, 0x3eedf032, v63
	v_mul_f32_e32 v69, 0x3eedf032, v65
	;; [unrolled: 1-line block ×6, first 2 shown]
	v_fmamk_f32 v104, v50, 0x3df6dbef, v67
	v_fma_f32 v105, 0x3df6dbef, v51, -v71
	v_fmamk_f32 v116, v50, 0x3f116cb1, v79
	v_fma_f32 v117, 0x3f116cb1, v51, -v85
	;; [unrolled: 2-line block ×3, first 2 shown]
	v_add_f32_e32 v29, v102, v29
	v_add_f32_e32 v30, v103, v30
	;; [unrolled: 1-line block ×6, first 2 shown]
	v_fmamk_f32 v106, v52, 0x3f62ad3f, v66
	v_fma_f32 v107, 0x3f62ad3f, v53, -v69
	v_fmamk_f32 v118, v52, 0xbf3f9e67, v78
	v_fma_f32 v119, 0xbf3f9e67, v53, -v84
	;; [unrolled: 2-line block ×3, first 2 shown]
	v_add_f32_e32 v29, v104, v29
	v_add_f32_e32 v30, v105, v30
	;; [unrolled: 1-line block ×12, first 2 shown]
	v_cmpx_gt_u32_e32 30, v28
	s_cbranch_execz .LBB0_20
; %bb.19:
	v_mul_f32_e32 v104, 0xbe750f2a, v58
	v_mul_f32_e32 v105, 0xbe750f2a, v54
	;; [unrolled: 1-line block ×5, first 2 shown]
	v_fmamk_f32 v102, v43, 0xbf788fa5, v104
	v_fma_f32 v103, 0xbf788fa5, v42, -v105
	v_fmamk_f32 v111, v45, 0x3f62ad3f, v106
	v_mul_f32_e32 v109, 0xbf29c268, v56
	v_mul_f32_e32 v110, 0x3f52af12, v61
	v_add_f32_e32 v102, v36, v102
	v_fma_f32 v113, 0x3f62ad3f, v44, -v108
	v_fmamk_f32 v114, v47, 0xbf3f9e67, v107
	v_add_f32_e32 v103, v35, v103
	v_mul_f32_e32 v112, 0x3f52af12, v57
	v_add_f32_e32 v102, v111, v102
	v_fma_f32 v115, 0xbf3f9e67, v46, -v109
	v_fmamk_f32 v116, v49, 0x3f116cb1, v110
	v_add_f32_e32 v103, v113, v103
	v_mul_f32_e32 v113, 0xbf29c268, v58
	v_add_f32_e32 v102, v114, v102
	v_mul_f32_e32 v111, 0xbf6f5d39, v64
	v_fma_f32 v114, 0x3f116cb1, v48, -v112
	v_add_f32_e32 v103, v115, v103
	v_mul_f32_e32 v115, 0xbf6f5d39, v59
	v_add_f32_e32 v102, v116, v102
	v_mul_f32_e32 v116, 0x3f7e222b, v60
	v_fmamk_f32 v118, v43, 0xbf3f9e67, v113
	v_fmamk_f32 v117, v51, 0xbeb58ec6, v111
	v_add_f32_e32 v103, v114, v103
	v_fma_f32 v114, 0xbeb58ec6, v50, -v115
	v_fmamk_f32 v119, v45, 0x3df6dbef, v116
	v_add_f32_e32 v118, v36, v118
	v_mul_f32_e32 v120, 0xbf52af12, v62
	v_mul_f32_e32 v122, 0xbf29c268, v54
	v_add_f32_e32 v102, v117, v102
	v_mul_f32_e32 v117, 0x3f7e222b, v65
	v_add_f32_e32 v114, v114, v103
	v_add_f32_e32 v103, v119, v118
	v_fmamk_f32 v118, v47, 0x3f116cb1, v120
	v_mul_f32_e32 v119, 0x3e750f2a, v61
	v_fma_f32 v124, 0xbf3f9e67, v42, -v122
	v_mul_f32_e32 v125, 0x3f7e222b, v55
	v_mul_f32_e32 v121, 0x3f7e222b, v63
	v_fmamk_f32 v123, v53, 0x3df6dbef, v117
	v_add_f32_e32 v103, v118, v103
	v_fmamk_f32 v118, v49, 0xbf788fa5, v119
	v_mul_f32_e32 v126, 0x3eedf032, v64
	v_add_f32_e32 v124, v35, v124
	v_fma_f32 v127, 0x3df6dbef, v44, -v125
	v_mul_f32_e32 v128, 0xbf52af12, v56
	v_fma_f32 v129, 0x3df6dbef, v52, -v121
	v_add_f32_e32 v118, v118, v103
	v_fmamk_f32 v130, v51, 0x3f62ad3f, v126
	v_add_f32_e32 v124, v127, v124
	v_fma_f32 v127, 0x3f116cb1, v46, -v128
	v_add_f32_e32 v103, v123, v102
	v_mul_f32_e32 v123, 0x3e750f2a, v57
	v_add_f32_e32 v102, v129, v114
	v_add_f32_e32 v114, v130, v118
	;; [unrolled: 1-line block ×3, first 2 shown]
	v_mul_f32_e32 v124, 0xbeb58ec6, v43
	v_fma_f32 v127, 0xbf788fa5, v48, -v123
	v_mul_f32_e32 v129, 0x3eedf032, v59
	v_mul_f32_e32 v130, 0xbf6f5d39, v65
	;; [unrolled: 1-line block ×3, first 2 shown]
	v_add_f32_e32 v101, v101, v124
	v_add_f32_e32 v118, v127, v118
	v_fma_f32 v124, 0x3f62ad3f, v50, -v129
	v_fmamk_f32 v127, v53, 0xbeb58ec6, v130
	v_add_f32_e32 v131, v100, v131
	v_add_f32_e32 v101, v36, v101
	v_mul_f32_e32 v132, 0x3f62ad3f, v47
	v_add_f32_e32 v118, v124, v118
	v_mul_f32_e32 v124, 0xbeb58ec6, v42
	v_add_f32_e32 v100, v127, v114
	v_add_f32_e32 v101, v131, v101
	v_add_f32_e32 v99, v99, v132
	v_mul_f32_e32 v114, 0xbf3f9e67, v44
	v_sub_f32_e32 v96, v124, v96
	v_mul_f32_e32 v127, 0x3df6dbef, v49
	v_add_f32_e32 v21, v36, v21
	v_add_f32_e32 v99, v99, v101
	v_sub_f32_e32 v94, v114, v94
	v_add_f32_e32 v96, v35, v96
	v_mul_f32_e32 v101, 0x3f62ad3f, v46
	v_add_f32_e32 v98, v98, v127
	v_mul_f32_e32 v127, 0xbf788fa5, v51
	v_add_f32_e32 v21, v21, v23
	v_add_f32_e32 v94, v94, v96
	v_sub_f32_e32 v95, v101, v95
	v_add_f32_e32 v20, v35, v20
	v_add_f32_e32 v96, v98, v99
	v_mul_f32_e32 v98, 0x3df6dbef, v48
	v_add_f32_e32 v97, v97, v127
	v_add_f32_e32 v94, v95, v94
	v_mul_f32_e32 v95, 0x3df6dbef, v43
	v_add_f32_e32 v17, v21, v17
	v_add_f32_e32 v20, v20, v22
	v_sub_f32_e32 v92, v98, v92
	v_add_f32_e32 v96, v97, v96
	v_mul_f32_e32 v97, 0xbf788fa5, v50
	v_mul_f32_e32 v98, 0xbf788fa5, v45
	v_add_f32_e32 v89, v89, v95
	v_add_f32_e32 v17, v17, v19
	;; [unrolled: 1-line block ×4, first 2 shown]
	v_sub_f32_e32 v91, v97, v91
	v_add_f32_e32 v88, v88, v98
	v_add_f32_e32 v89, v36, v89
	;; [unrolled: 1-line block ×4, first 2 shown]
	v_mul_f32_e32 v94, 0xbeb58ec6, v47
	v_add_f32_e32 v91, v91, v92
	v_mul_f32_e32 v92, 0x3f116cb1, v52
	v_add_f32_e32 v88, v88, v89
	;; [unrolled: 2-line block ×3, first 2 shown]
	v_add_f32_e32 v12, v16, v12
	v_add_f32_e32 v87, v87, v94
	v_mul_f32_e32 v94, 0x3f62ad3f, v49
	v_sub_f32_e32 v90, v92, v90
	v_mul_f32_e32 v92, 0xbf788fa5, v44
	v_sub_f32_e32 v83, v89, v83
	v_add_f32_e32 v9, v13, v9
	v_add_f32_e32 v12, v12, v14
	;; [unrolled: 1-line block ×4, first 2 shown]
	v_mul_f32_e32 v88, 0x3f116cb1, v51
	v_sub_f32_e32 v81, v92, v81
	v_add_f32_e32 v89, v35, v83
	v_mul_f32_e32 v92, 0xbeb58ec6, v46
	v_add_f32_e32 v9, v9, v11
	v_add_f32_e32 v11, v12, v8
	;; [unrolled: 1-line block ×5, first 2 shown]
	v_sub_f32_e32 v87, v92, v82
	v_mul_f32_e32 v88, 0x3f62ad3f, v48
	v_add_f32_e32 v5, v9, v5
	v_add_f32_e32 v9, v11, v10
	;; [unrolled: 1-line block ×3, first 2 shown]
	v_mul_f32_e32 v86, 0xbf3f9e67, v53
	v_add_f32_e32 v81, v87, v81
	v_sub_f32_e32 v80, v88, v80
	v_mul_f32_e32 v87, 0x3f116cb1, v43
	v_mul_f32_e32 v21, 0xbeedf032, v54
	v_add_f32_e32 v5, v5, v7
	v_add_f32_e32 v4, v9, v4
	v_fma_f32 v7, 0xbf788fa5, v43, -v104
	v_mul_f32_e32 v88, 0x3f116cb1, v50
	v_add_f32_e32 v84, v84, v86
	v_mul_f32_e32 v86, 0xbeb58ec6, v45
	v_add_f32_e32 v80, v80, v81
	v_add_f32_e32 v77, v77, v87
	v_mul_f32_e32 v81, 0xbf3f9e67, v52
	v_fma_f32 v19, 0x3f62ad3f, v42, -v21
	v_mul_f32_e32 v20, 0xbf52af12, v55
	v_add_f32_e32 v1, v5, v1
	v_add_f32_e32 v4, v4, v6
	;; [unrolled: 1-line block ×3, first 2 shown]
	v_fma_f32 v6, 0x3f62ad3f, v45, -v106
	v_fmac_f32_e32 v105, 0xbf788fa5, v42
	v_sub_f32_e32 v79, v88, v79
	v_add_f32_e32 v76, v76, v86
	v_mul_f32_e32 v86, 0x3f116cb1, v42
	v_add_f32_e32 v77, v36, v77
	v_sub_f32_e32 v78, v81, v78
	v_mul_f32_e32 v81, 0xbf788fa5, v47
	v_add_f32_e32 v17, v35, v19
	v_fma_f32 v18, 0x3f116cb1, v44, -v20
	v_mul_f32_e32 v19, 0xbf7e222b, v56
	v_add_f32_e32 v1, v1, v3
	v_add_f32_e32 v0, v4, v0
	;; [unrolled: 1-line block ×3, first 2 shown]
	v_fma_f32 v4, 0xbf3f9e67, v47, -v107
	v_add_f32_e32 v5, v35, v105
	v_fmac_f32_e32 v108, 0x3f62ad3f, v44
	v_add_f32_e32 v79, v79, v80
	v_mul_f32_e32 v80, 0xbeb58ec6, v44
	v_add_f32_e32 v76, v76, v77
	v_sub_f32_e32 v74, v86, v74
	v_add_f32_e32 v75, v75, v81
	v_mul_f32_e32 v81, 0xbf3f9e67, v49
	v_add_f32_e32 v16, v18, v17
	v_fma_f32 v17, 0x3df6dbef, v46, -v19
	v_mul_f32_e32 v13, 0xbf6f5d39, v57
	v_add_f32_e32 v0, v0, v2
	v_fma_f32 v2, 0xbf3f9e67, v43, -v113
	v_add_f32_e32 v3, v4, v3
	v_fma_f32 v4, 0x3f116cb1, v49, -v110
	v_add_f32_e32 v5, v108, v5
	v_fmac_f32_e32 v109, 0xbf3f9e67, v46
	v_mul_f32_e32 v77, 0xbf788fa5, v46
	v_sub_f32_e32 v72, v80, v72
	v_add_f32_e32 v74, v35, v74
	v_add_f32_e32 v75, v75, v76
	v_mul_f32_e32 v76, 0x3df6dbef, v51
	v_add_f32_e32 v73, v73, v81
	v_add_f32_e32 v16, v17, v16
	v_fma_f32 v12, 0xbeb58ec6, v48, -v13
	v_mul_f32_e32 v17, 0xbf29c268, v59
	v_add_f32_e32 v2, v36, v2
	v_fma_f32 v6, 0x3df6dbef, v45, -v116
	v_add_f32_e32 v3, v4, v3
	v_fma_f32 v4, 0xbeb58ec6, v51, -v111
	v_add_f32_e32 v5, v109, v5
	v_fmac_f32_e32 v112, 0x3f116cb1, v48
	v_mul_f32_e32 v86, 0xbf3f9e67, v48
	v_add_f32_e32 v74, v72, v74
	v_mul_f32_e32 v87, 0x3f62ad3f, v53
	v_sub_f32_e32 v70, v77, v70
	v_add_f32_e32 v73, v73, v75
	v_add_f32_e32 v75, v71, v76
	v_mul_f32_e32 v58, 0xbeedf032, v58
	v_add_f32_e32 v10, v12, v16
	v_fma_f32 v11, 0xbf3f9e67, v50, -v17
	v_mul_f32_e32 v12, 0xbe750f2a, v63
	v_add_f32_e32 v2, v6, v2
	v_fma_f32 v6, 0x3f116cb1, v47, -v120
	v_add_f32_e32 v3, v4, v3
	v_fma_f32 v4, 0x3df6dbef, v53, -v117
	v_add_f32_e32 v5, v112, v5
	v_fmac_f32_e32 v115, 0xbeb58ec6, v50
	v_mul_f32_e32 v80, 0x3df6dbef, v50
	v_add_f32_e32 v70, v70, v74
	v_sub_f32_e32 v68, v86, v68
	v_add_f32_e32 v73, v75, v73
	v_add_f32_e32 v69, v69, v87
	v_fmamk_f32 v74, v43, 0x3f62ad3f, v58
	v_mul_f32_e32 v60, 0xbf52af12, v60
	v_add_f32_e32 v9, v11, v10
	v_fma_f32 v10, 0xbf788fa5, v52, -v12
	v_add_f32_e32 v2, v6, v2
	v_fma_f32 v6, 0xbf788fa5, v49, -v119
	v_add_f32_e32 v3, v4, v3
	v_fmac_f32_e32 v122, 0xbf3f9e67, v42
	v_add_f32_e32 v4, v115, v5
	v_fmac_f32_e32 v121, 0x3df6dbef, v52
	v_mul_f32_e32 v81, 0x3f62ad3f, v52
	v_add_f32_e32 v68, v68, v70
	v_sub_f32_e32 v70, v80, v67
	v_add_f32_e32 v67, v69, v73
	v_add_f32_e32 v69, v36, v74
	v_fmamk_f32 v73, v45, 0x3f116cb1, v60
	v_mul_f32_e32 v62, 0xbf7e222b, v62
	v_add_f32_e32 v7, v10, v9
	v_add_f32_e32 v5, v6, v2
	v_fma_f32 v6, 0x3f62ad3f, v51, -v126
	v_add_f32_e32 v9, v35, v122
	v_fmac_f32_e32 v125, 0x3df6dbef, v44
	v_add_f32_e32 v2, v121, v4
	v_fma_f32 v4, 0x3f62ad3f, v43, -v58
	v_fmac_f32_e32 v21, 0x3f62ad3f, v42
	v_add_f32_e32 v68, v70, v68
	v_sub_f32_e32 v66, v81, v66
	v_add_f32_e32 v69, v73, v69
	v_fmamk_f32 v70, v47, 0x3df6dbef, v62
	v_mul_f32_e32 v61, 0xbf6f5d39, v61
	v_add_f32_e32 v5, v6, v5
	v_add_f32_e32 v6, v125, v9
	;; [unrolled: 1-line block ×3, first 2 shown]
	v_fma_f32 v9, 0x3f116cb1, v45, -v60
	v_add_f32_e32 v10, v35, v21
	v_fmac_f32_e32 v20, 0x3f116cb1, v44
	v_fmac_f32_e32 v128, 0x3f116cb1, v46
	v_add_f32_e32 v66, v66, v68
	v_add_f32_e32 v23, v70, v69
	v_fmamk_f32 v68, v49, 0xbeb58ec6, v61
	v_mul_f32_e32 v64, 0xbf29c268, v64
	v_add_f32_e32 v4, v9, v4
	v_fma_f32 v9, 0x3df6dbef, v47, -v62
	v_add_f32_e32 v10, v20, v10
	v_fmac_f32_e32 v19, 0x3df6dbef, v46
	v_add_f32_e32 v6, v128, v6
	v_fmac_f32_e32 v123, 0xbf788fa5, v48
	v_add_f32_e32 v22, v68, v23
	v_fmamk_f32 v23, v51, 0xbf3f9e67, v64
	v_mul_f32_e32 v15, 0xbe750f2a, v65
	v_add_f32_e32 v4, v9, v4
	v_fma_f32 v9, 0xbeb58ec6, v49, -v61
	v_add_f32_e32 v10, v19, v10
	v_fmac_f32_e32 v13, 0xbeb58ec6, v48
	v_mul_f32_e32 v124, 0xbf6f5d39, v63
	v_mul_f32_e32 v95, 0x3f116cb1, v53
	v_add_f32_e32 v6, v123, v6
	v_fmac_f32_e32 v129, 0x3f62ad3f, v50
	v_add_f32_e32 v22, v23, v22
	v_fmamk_f32 v14, v53, 0xbf788fa5, v15
	v_add_f32_e32 v4, v9, v4
	v_fma_f32 v9, 0xbf3f9e67, v51, -v64
	v_add_f32_e32 v10, v13, v10
	v_fmac_f32_e32 v17, 0xbf3f9e67, v50
	v_mul_u32_u24_e32 v13, 0x68, v28
	v_fma_f32 v114, 0xbeb58ec6, v52, -v124
	v_add_f32_e32 v93, v93, v95
	v_fma_f32 v11, 0xbeb58ec6, v53, -v130
	v_add_f32_e32 v6, v129, v6
	v_fmac_f32_e32 v124, 0xbeb58ec6, v52
	v_add_f32_e32 v8, v14, v22
	v_add_f32_e32 v9, v9, v4
	v_fma_f32 v14, 0xbf788fa5, v53, -v15
	v_add_f32_e32 v15, v17, v10
	v_fmac_f32_e32 v12, 0xbf788fa5, v52
	v_add3_u32 v13, 0, v13, v39
	v_add_f32_e32 v72, v84, v85
	v_add_f32_e32 v71, v78, v79
	;; [unrolled: 1-line block ×9, first 2 shown]
	ds_write2_b64 v13, v[0:1], v[7:8] offset1:1
	ds_write2_b64 v13, v[66:67], v[71:72] offset0:2 offset1:3
	ds_write2_b64 v13, v[82:83], v[99:100] offset0:4 offset1:5
	;; [unrolled: 1-line block ×5, first 2 shown]
	ds_write_b64 v13, v[9:10] offset:96
.LBB0_20:
	s_or_b32 exec_lo, exec_lo, s1
	v_add_nc_u32_e32 v0, 0x400, v38
	s_waitcnt lgkmcnt(0)
	s_barrier
	buffer_gl0_inv
	ds_read_b64 v[16:17], v40
	ds_read2_b64 v[8:11], v38 offset0:130 offset1:169
	ds_read2_b64 v[4:7], v0 offset0:80 offset1:132
	;; [unrolled: 1-line block ×4, first 2 shown]
	v_cmp_gt_u32_e64 s0, 13, v28
	s_and_saveexec_b32 s1, s0
	s_cbranch_execz .LBB0_22
; %bb.21:
	ds_read2_b64 v[18:21], v38 offset0:117 offset1:247
	ds_read_b64 v[31:32], v38 offset:3016
	s_waitcnt lgkmcnt(1)
	v_mov_b32_e32 v30, v19
	v_mov_b32_e32 v29, v18
	;; [unrolled: 1-line block ×4, first 2 shown]
.LBB0_22:
	s_or_b32 exec_lo, exec_lo, s1
	v_and_b32_e32 v18, 0xff, v28
	v_add_nc_u16 v19, v28, 39
	v_add_nc_u16 v35, v28, 0x4e
	v_mul_lo_u16 v18, 0x4f, v18
	v_and_b32_e32 v20, 0xff, v19
	v_and_b32_e32 v21, 0xff, v35
	v_lshrrev_b16 v36, 10, v18
	v_mul_lo_u16 v20, 0x4f, v20
	v_mul_lo_u16 v21, 0x4f, v21
	v_mov_b32_e32 v18, 4
	v_mul_lo_u16 v22, v36, 13
	v_lshrrev_b16 v49, 10, v20
	v_lshrrev_b16 v51, 10, v21
	v_and_b32_e32 v36, 0xffff, v36
	v_sub_nc_u16 v50, v28, v22
	v_mul_lo_u16 v20, v49, 13
	v_mul_lo_u16 v41, v51, 13
	v_mad_u32_u24 v36, 0x138, v36, 0
	v_and_b32_e32 v49, 0xffff, v49
	v_lshlrev_b32_sdwa v21, v18, v50 dst_sel:DWORD dst_unused:UNUSED_PAD src0_sel:DWORD src1_sel:BYTE_0
	v_sub_nc_u16 v52, v19, v20
	v_sub_nc_u16 v35, v35, v41
	v_and_b32_e32 v51, 0xffff, v51
	v_mad_u32_u24 v49, 0x138, v49, 0
	global_load_dwordx4 v[20:23], v21, s[12:13]
	v_lshlrev_b32_sdwa v19, v18, v52 dst_sel:DWORD dst_unused:UNUSED_PAD src0_sel:DWORD src1_sel:BYTE_0
	v_lshlrev_b32_sdwa v45, v18, v35 dst_sel:DWORD dst_unused:UNUSED_PAD src0_sel:DWORD src1_sel:BYTE_0
	v_mad_u32_u24 v51, 0x138, v51, 0
	s_clause 0x1
	global_load_dwordx4 v[41:44], v19, s[12:13]
	global_load_dwordx4 v[45:48], v45, s[12:13]
	v_mov_b32_e32 v19, 3
	s_waitcnt vmcnt(0) lgkmcnt(0)
	s_barrier
	buffer_gl0_inv
	v_lshlrev_b32_sdwa v50, v19, v50 dst_sel:DWORD dst_unused:UNUSED_PAD src0_sel:DWORD src1_sel:BYTE_0
	v_lshlrev_b32_sdwa v35, v19, v35 dst_sel:DWORD dst_unused:UNUSED_PAD src0_sel:DWORD src1_sel:BYTE_0
	v_add3_u32 v36, v36, v50, v39
	v_lshlrev_b32_sdwa v50, v19, v52 dst_sel:DWORD dst_unused:UNUSED_PAD src0_sel:DWORD src1_sel:BYTE_0
	v_add3_u32 v35, v51, v35, v39
	v_add3_u32 v49, v49, v50, v39
	v_mul_f32_e32 v50, v21, v9
	v_mul_f32_e32 v21, v21, v8
	;; [unrolled: 1-line block ×4, first 2 shown]
	v_fma_f32 v8, v20, v8, -v50
	v_fmac_f32_e32 v21, v20, v9
	v_fma_f32 v6, v22, v6, -v52
	v_fmac_f32_e32 v23, v22, v7
	v_mul_f32_e32 v7, v42, v11
	v_mul_f32_e32 v9, v42, v10
	;; [unrolled: 1-line block ×8, first 2 shown]
	v_fma_f32 v7, v41, v10, -v7
	v_fmac_f32_e32 v9, v41, v11
	v_fma_f32 v10, v43, v12, -v20
	v_fmac_f32_e32 v22, v43, v13
	v_fmac_f32_e32 v44, v45, v5
	v_fma_f32 v12, v47, v14, -v46
	v_fmac_f32_e32 v48, v47, v15
	v_add_f32_e32 v5, v8, v6
	v_add_f32_e32 v14, v17, v21
	;; [unrolled: 1-line block ×3, first 2 shown]
	v_fma_f32 v11, v45, v4, -v42
	v_add_f32_e32 v4, v16, v8
	v_sub_f32_e32 v13, v21, v23
	v_fma_f32 v16, -0.5, v5, v16
	v_add_f32_e32 v5, v14, v23
	v_fmac_f32_e32 v17, -0.5, v15
	v_add_f32_e32 v15, v7, v10
	v_add_f32_e32 v23, v9, v22
	;; [unrolled: 1-line block ×3, first 2 shown]
	v_sub_f32_e32 v45, v44, v48
	v_add_f32_e32 v46, v3, v44
	v_add_f32_e32 v44, v44, v48
	v_sub_f32_e32 v8, v8, v6
	v_add_f32_e32 v14, v0, v7
	v_sub_f32_e32 v20, v9, v22
	v_add_f32_e32 v21, v1, v9
	v_sub_f32_e32 v41, v7, v10
	v_add_f32_e32 v42, v2, v11
	v_fma_f32 v0, -0.5, v15, v0
	v_fma_f32 v1, -0.5, v23, v1
	v_sub_f32_e32 v47, v11, v12
	v_fma_f32 v2, -0.5, v43, v2
	v_fmac_f32_e32 v3, -0.5, v44
	v_add_f32_e32 v4, v4, v6
	v_fmamk_f32 v6, v13, 0x3f5db3d7, v16
	v_fmamk_f32 v7, v8, 0xbf5db3d7, v17
	v_fmac_f32_e32 v16, 0xbf5db3d7, v13
	v_fmac_f32_e32 v17, 0x3f5db3d7, v8
	v_add_f32_e32 v8, v14, v10
	v_add_f32_e32 v9, v21, v22
	;; [unrolled: 1-line block ×3, first 2 shown]
	v_fmamk_f32 v12, v20, 0x3f5db3d7, v0
	v_fmamk_f32 v13, v41, 0xbf5db3d7, v1
	v_fmac_f32_e32 v0, 0xbf5db3d7, v20
	v_fmac_f32_e32 v1, 0x3f5db3d7, v41
	v_add_f32_e32 v11, v46, v48
	v_fmamk_f32 v14, v45, 0x3f5db3d7, v2
	v_fmamk_f32 v15, v47, 0xbf5db3d7, v3
	v_fmac_f32_e32 v2, 0xbf5db3d7, v45
	v_fmac_f32_e32 v3, 0x3f5db3d7, v47
	ds_write2_b64 v36, v[4:5], v[6:7] offset1:13
	ds_write_b64 v36, v[16:17] offset:208
	ds_write2_b64 v49, v[8:9], v[12:13] offset1:13
	ds_write_b64 v49, v[0:1] offset:208
	;; [unrolled: 2-line block ×3, first 2 shown]
	s_and_saveexec_b32 s1, s0
	s_cbranch_execz .LBB0_24
; %bb.23:
	v_add_nc_u16 v0, v28, 0x75
	v_and_b32_e32 v1, 0xff, v0
	v_mul_lo_u16 v1, 0x4f, v1
	v_lshrrev_b16 v1, 10, v1
	v_mul_lo_u16 v1, v1, 13
	v_sub_nc_u16 v4, v0, v1
	v_lshlrev_b32_sdwa v0, v18, v4 dst_sel:DWORD dst_unused:UNUSED_PAD src0_sel:DWORD src1_sel:BYTE_0
	v_lshlrev_b32_sdwa v4, v19, v4 dst_sel:DWORD dst_unused:UNUSED_PAD src0_sel:DWORD src1_sel:BYTE_0
	global_load_dwordx4 v[0:3], v0, s[12:13]
	v_add3_u32 v8, 0, v4, v39
	v_add_nc_u32_e32 v9, 0x800, v8
	s_waitcnt vmcnt(0)
	v_mul_f32_e32 v5, v34, v1
	v_mul_f32_e32 v6, v33, v1
	;; [unrolled: 1-line block ×4, first 2 shown]
	v_fma_f32 v3, v33, v0, -v5
	v_fmac_f32_e32 v6, v34, v0
	v_fmac_f32_e32 v7, v32, v2
	v_fma_f32 v2, v31, v2, -v1
	v_add_f32_e32 v11, v29, v3
	v_add_f32_e32 v10, v30, v6
	;; [unrolled: 1-line block ×4, first 2 shown]
	v_sub_f32_e32 v4, v3, v2
	v_sub_f32_e32 v6, v6, v7
	v_add_f32_e32 v3, v10, v7
	v_fma_f32 v1, -0.5, v0, v30
	v_fma_f32 v0, -0.5, v5, v29
	v_add_f32_e32 v2, v11, v2
	v_fmamk_f32 v5, v4, 0x3f5db3d7, v1
	v_fmac_f32_e32 v1, 0xbf5db3d7, v4
	v_fmamk_f32 v4, v6, 0xbf5db3d7, v0
	v_fmac_f32_e32 v0, 0x3f5db3d7, v6
	ds_write2_b64 v9, v[2:3], v[0:1] offset0:95 offset1:108
	ds_write_b64 v8, v[4:5] offset:3016
.LBB0_24:
	s_or_b32 exec_lo, exec_lo, s1
	v_mul_u32_u24_e32 v0, 9, v28
	s_waitcnt lgkmcnt(0)
	s_barrier
	buffer_gl0_inv
	v_add_nc_u32_e32 v45, 0x800, v38
	v_lshlrev_b32_e32 v16, 3, v0
	v_add_nc_u32_e32 v46, 0x400, v38
	s_clause 0x4
	global_load_dwordx4 v[0:3], v16, s[12:13] offset:208
	global_load_dwordx4 v[4:7], v16, s[12:13] offset:224
	;; [unrolled: 1-line block ×4, first 2 shown]
	global_load_dwordx2 v[41:42], v16, s[12:13] offset:272
	ds_read2_b64 v[16:19], v38 offset0:39 offset1:78
	ds_read2_b64 v[20:23], v38 offset0:117 offset1:156
	;; [unrolled: 1-line block ×4, first 2 shown]
	ds_read_b64 v[39:40], v40
	ds_read_b64 v[43:44], v38 offset:2808
	s_waitcnt vmcnt(0) lgkmcnt(0)
	s_barrier
	buffer_gl0_inv
	v_mul_f32_e32 v47, v1, v17
	v_mul_f32_e32 v48, v1, v16
	;; [unrolled: 1-line block ×18, first 2 shown]
	v_fma_f32 v16, v0, v16, -v47
	v_fmac_f32_e32 v48, v0, v17
	v_fma_f32 v0, v2, v18, -v1
	v_fmac_f32_e32 v3, v2, v19
	;; [unrolled: 2-line block ×9, first 2 shown]
	v_add_f32_e32 v14, v39, v0
	v_sub_f32_e32 v20, v0, v2
	v_sub_f32_e32 v21, v10, v6
	;; [unrolled: 1-line block ×4, first 2 shown]
	v_add_f32_e32 v30, v40, v3
	v_sub_f32_e32 v33, v3, v7
	v_sub_f32_e32 v34, v15, v11
	v_add_f32_e32 v43, v4, v8
	v_add_f32_e32 v55, v9, v13
	;; [unrolled: 1-line block ×7, first 2 shown]
	v_sub_f32_e32 v18, v3, v15
	v_sub_f32_e32 v19, v7, v11
	v_add_f32_e32 v31, v7, v11
	v_sub_f32_e32 v32, v2, v6
	v_add_f32_e32 v35, v3, v15
	v_sub_f32_e32 v3, v7, v3
	v_sub_f32_e32 v44, v5, v42
	;; [unrolled: 1-line block ×5, first 2 shown]
	v_add_f32_e32 v2, v14, v2
	v_add_f32_e32 v14, v20, v21
	;; [unrolled: 1-line block ×5, first 2 shown]
	v_fma_f32 v29, -0.5, v43, v16
	v_fma_f32 v33, -0.5, v55, v48
	v_add_f32_e32 v22, v0, v10
	v_sub_f32_e32 v47, v9, v13
	v_sub_f32_e32 v56, v4, v8
	v_sub_f32_e32 v57, v5, v9
	v_sub_f32_e32 v5, v9, v5
	v_add_f32_e32 v4, v41, v4
	v_fmac_f32_e32 v16, -0.5, v51
	v_add_f32_e32 v9, v54, v9
	v_fmac_f32_e32 v48, -0.5, v59
	v_sub_f32_e32 v36, v11, v15
	v_sub_f32_e32 v50, v12, v8
	;; [unrolled: 1-line block ×3, first 2 shown]
	v_add_f32_e32 v2, v2, v6
	v_add_f32_e32 v6, v7, v11
	v_fmamk_f32 v7, v44, 0x3f737871, v29
	v_fmamk_f32 v11, v1, 0xbf737871, v33
	v_sub_f32_e32 v53, v8, v12
	v_sub_f32_e32 v60, v13, v42
	v_fma_f32 v17, -0.5, v17, v39
	v_fma_f32 v20, -0.5, v22, v39
	;; [unrolled: 1-line block ×3, first 2 shown]
	v_fmac_f32_e32 v40, -0.5, v35
	v_add_f32_e32 v4, v4, v8
	v_fmamk_f32 v8, v47, 0xbf737871, v16
	v_fmac_f32_e32 v16, 0x3f737871, v47
	v_add_f32_e32 v9, v9, v13
	v_fmamk_f32 v13, v56, 0x3f737871, v48
	v_fmac_f32_e32 v48, 0xbf737871, v56
	v_fmac_f32_e32 v29, 0xbf737871, v44
	;; [unrolled: 1-line block ×3, first 2 shown]
	v_sub_f32_e32 v0, v0, v10
	v_add_f32_e32 v30, v49, v50
	v_add_f32_e32 v34, v57, v58
	v_fmac_f32_e32 v7, 0x3f167918, v47
	v_fmac_f32_e32 v11, 0xbf167918, v56
	v_add_f32_e32 v31, v52, v53
	v_add_f32_e32 v5, v5, v60
	v_fmamk_f32 v35, v18, 0x3f737871, v17
	v_fmac_f32_e32 v17, 0xbf737871, v18
	v_fmamk_f32 v41, v32, 0x3f737871, v40
	v_fmac_f32_e32 v40, 0xbf737871, v32
	v_fmac_f32_e32 v8, 0x3f167918, v44
	;; [unrolled: 1-line block ×7, first 2 shown]
	v_fmamk_f32 v39, v0, 0xbf737871, v22
	v_fmac_f32_e32 v7, 0x3e9e377a, v30
	v_fmac_f32_e32 v11, 0x3e9e377a, v34
	v_add_f32_e32 v3, v3, v36
	v_fmamk_f32 v36, v19, 0xbf737871, v20
	v_fmac_f32_e32 v20, 0x3f737871, v19
	v_fmac_f32_e32 v22, 0x3f737871, v0
	v_add_f32_e32 v2, v2, v10
	v_fmac_f32_e32 v35, 0x3f167918, v19
	v_fmac_f32_e32 v17, 0xbf167918, v19
	v_add_f32_e32 v6, v6, v15
	;; [unrolled: 3-line block ×3, first 2 shown]
	v_add_f32_e32 v9, v9, v42
	v_fmac_f32_e32 v8, 0x3e9e377a, v31
	v_fmac_f32_e32 v16, 0x3e9e377a, v31
	;; [unrolled: 1-line block ×7, first 2 shown]
	v_mul_f32_e32 v12, 0x3f167918, v11
	v_mul_f32_e32 v15, 0xbf167918, v7
	v_fmac_f32_e32 v36, 0x3f167918, v18
	v_fmac_f32_e32 v20, 0xbf167918, v18
	;; [unrolled: 1-line block ×7, first 2 shown]
	v_add_f32_e32 v0, v2, v4
	v_add_f32_e32 v1, v6, v9
	v_sub_f32_e32 v2, v2, v4
	v_sub_f32_e32 v3, v6, v9
	v_mul_f32_e32 v14, 0x3f737871, v13
	v_mul_f32_e32 v4, 0x3e9e377a, v16
	;; [unrolled: 1-line block ×6, first 2 shown]
	v_fmac_f32_e32 v39, 0x3e9e377a, v23
	v_fmac_f32_e32 v12, 0x3f4f1bbd, v7
	;; [unrolled: 1-line block ×7, first 2 shown]
	v_fma_f32 v18, 0x3f737871, v48, -v4
	v_fmac_f32_e32 v19, 0x3e9e377a, v13
	v_fma_f32 v23, 0xbf737871, v16, -v6
	v_fma_f32 v21, 0x3f167918, v33, -v5
	;; [unrolled: 1-line block ×3, first 2 shown]
	v_add_f32_e32 v4, v35, v12
	v_add_f32_e32 v5, v39, v15
	v_add_f32_e32 v6, v36, v14
	v_add_f32_e32 v8, v20, v18
	v_add_f32_e32 v7, v41, v19
	v_add_f32_e32 v9, v40, v23
	v_add_f32_e32 v10, v17, v21
	v_add_f32_e32 v11, v22, v29
	v_sub_f32_e32 v12, v35, v12
	v_sub_f32_e32 v14, v36, v14
	;; [unrolled: 1-line block ×8, first 2 shown]
	ds_write2_b64 v38, v[0:1], v[4:5] offset1:39
	ds_write2_b64 v38, v[6:7], v[8:9] offset0:78 offset1:117
	ds_write2_b64 v38, v[10:11], v[2:3] offset0:156 offset1:195
	;; [unrolled: 1-line block ×4, first 2 shown]
	s_waitcnt lgkmcnt(0)
	s_barrier
	buffer_gl0_inv
	s_and_saveexec_b32 s0, vcc_lo
	s_cbranch_execz .LBB0_26
; %bb.25:
	v_mul_lo_u32 v2, s3, v26
	v_mul_lo_u32 v3, s2, v27
	v_mad_u64_u32 v[0:1], null, s2, v26, 0
	v_lshl_add_u32 v20, v28, 3, v37
	v_mov_b32_e32 v29, 0
	v_lshlrev_b64 v[4:5], 3, v[24:25]
	v_add_nc_u32_e32 v6, 39, v28
	v_add_nc_u32_e32 v8, 0x4e, v28
	;; [unrolled: 1-line block ×3, first 2 shown]
	v_add3_u32 v1, v1, v3, v2
	v_lshlrev_b64 v[13:14], 3, v[28:29]
	v_mov_b32_e32 v7, v29
	v_mov_b32_e32 v9, v29
	v_add_nc_u32_e32 v16, 0x9c, v28
	v_lshlrev_b64 v[11:12], 3, v[0:1]
	ds_read2_b64 v[0:3], v20 offset1:39
	v_mov_b32_e32 v17, v29
	v_add_nc_u32_e32 v18, 0xc3, v28
	v_mov_b32_e32 v19, v29
	v_add_co_u32 v15, vcc_lo, s10, v11
	v_add_co_ci_u32_e32 v12, vcc_lo, s11, v12, vcc_lo
	v_mov_b32_e32 v11, v29
	v_add_co_u32 v21, vcc_lo, v15, v4
	v_add_co_ci_u32_e32 v22, vcc_lo, v12, v5, vcc_lo
	v_lshlrev_b64 v[4:5], 3, v[6:7]
	v_add_co_u32 v6, vcc_lo, v21, v13
	v_add_co_ci_u32_e32 v7, vcc_lo, v22, v14, vcc_lo
	v_lshlrev_b64 v[14:15], 3, v[10:11]
	v_add_co_u32 v12, vcc_lo, v21, v4
	v_add_co_ci_u32_e32 v13, vcc_lo, v22, v5, vcc_lo
	s_waitcnt lgkmcnt(0)
	global_store_dwordx2 v[6:7], v[0:1], off
	ds_read2_b64 v[4:7], v20 offset0:78 offset1:117
	v_lshlrev_b64 v[0:1], 3, v[8:9]
	ds_read2_b64 v[8:11], v20 offset0:156 offset1:195
	v_lshlrev_b64 v[16:17], 3, v[16:17]
	v_add_co_u32 v0, vcc_lo, v21, v0
	v_add_co_ci_u32_e32 v1, vcc_lo, v22, v1, vcc_lo
	v_add_co_u32 v14, vcc_lo, v21, v14
	v_add_co_ci_u32_e32 v15, vcc_lo, v22, v15, vcc_lo
	;; [unrolled: 2-line block ×3, first 2 shown]
	global_store_dwordx2 v[12:13], v[2:3], off
	s_waitcnt lgkmcnt(1)
	global_store_dwordx2 v[0:1], v[4:5], off
	global_store_dwordx2 v[14:15], v[6:7], off
	s_waitcnt lgkmcnt(0)
	global_store_dwordx2 v[16:17], v[8:9], off
	v_lshlrev_b64 v[0:1], 3, v[18:19]
	v_add_nc_u32_e32 v2, 0x400, v20
	v_add_nc_u32_e32 v4, 0xea, v28
	v_mov_b32_e32 v5, v29
	v_add_nc_u32_e32 v6, 0x111, v28
	v_mov_b32_e32 v7, v29
	v_add_nc_u32_e32 v18, 0x800, v20
	v_add_co_u32 v8, vcc_lo, v21, v0
	v_add_co_ci_u32_e32 v9, vcc_lo, v22, v1, vcc_lo
	ds_read2_b64 v[0:3], v2 offset0:106 offset1:145
	v_lshlrev_b64 v[12:13], 3, v[4:5]
	v_lshlrev_b64 v[14:15], 3, v[6:7]
	v_add_nc_u32_e32 v16, 0x138, v28
	v_mov_b32_e32 v17, v29
	ds_read2_b64 v[4:7], v18 offset0:56 offset1:95
	v_add_nc_u32_e32 v28, 0x15f, v28
	v_add_co_u32 v12, vcc_lo, v21, v12
	v_lshlrev_b64 v[16:17], 3, v[16:17]
	v_add_co_ci_u32_e32 v13, vcc_lo, v22, v13, vcc_lo
	v_add_co_u32 v14, vcc_lo, v21, v14
	v_lshlrev_b64 v[18:19], 3, v[28:29]
	v_add_co_ci_u32_e32 v15, vcc_lo, v22, v15, vcc_lo
	v_add_co_u32 v16, vcc_lo, v21, v16
	v_add_co_ci_u32_e32 v17, vcc_lo, v22, v17, vcc_lo
	v_add_co_u32 v18, vcc_lo, v21, v18
	v_add_co_ci_u32_e32 v19, vcc_lo, v22, v19, vcc_lo
	global_store_dwordx2 v[8:9], v[10:11], off
	s_waitcnt lgkmcnt(1)
	global_store_dwordx2 v[12:13], v[0:1], off
	global_store_dwordx2 v[14:15], v[2:3], off
	s_waitcnt lgkmcnt(0)
	global_store_dwordx2 v[16:17], v[4:5], off
	global_store_dwordx2 v[18:19], v[6:7], off
.LBB0_26:
	s_endpgm
	.section	.rodata,"a",@progbits
	.p2align	6, 0x0
	.amdhsa_kernel fft_rtc_fwd_len390_factors_13_3_10_wgs_117_tpt_39_sp_op_CI_CI_unitstride_sbrr_C2R_dirReg
		.amdhsa_group_segment_fixed_size 0
		.amdhsa_private_segment_fixed_size 0
		.amdhsa_kernarg_size 104
		.amdhsa_user_sgpr_count 6
		.amdhsa_user_sgpr_private_segment_buffer 1
		.amdhsa_user_sgpr_dispatch_ptr 0
		.amdhsa_user_sgpr_queue_ptr 0
		.amdhsa_user_sgpr_kernarg_segment_ptr 1
		.amdhsa_user_sgpr_dispatch_id 0
		.amdhsa_user_sgpr_flat_scratch_init 0
		.amdhsa_user_sgpr_private_segment_size 0
		.amdhsa_wavefront_size32 1
		.amdhsa_uses_dynamic_stack 0
		.amdhsa_system_sgpr_private_segment_wavefront_offset 0
		.amdhsa_system_sgpr_workgroup_id_x 1
		.amdhsa_system_sgpr_workgroup_id_y 0
		.amdhsa_system_sgpr_workgroup_id_z 0
		.amdhsa_system_sgpr_workgroup_info 0
		.amdhsa_system_vgpr_workitem_id 0
		.amdhsa_next_free_vgpr 133
		.amdhsa_next_free_sgpr 27
		.amdhsa_reserve_vcc 1
		.amdhsa_reserve_flat_scratch 0
		.amdhsa_float_round_mode_32 0
		.amdhsa_float_round_mode_16_64 0
		.amdhsa_float_denorm_mode_32 3
		.amdhsa_float_denorm_mode_16_64 3
		.amdhsa_dx10_clamp 1
		.amdhsa_ieee_mode 1
		.amdhsa_fp16_overflow 0
		.amdhsa_workgroup_processor_mode 1
		.amdhsa_memory_ordered 1
		.amdhsa_forward_progress 0
		.amdhsa_shared_vgpr_count 0
		.amdhsa_exception_fp_ieee_invalid_op 0
		.amdhsa_exception_fp_denorm_src 0
		.amdhsa_exception_fp_ieee_div_zero 0
		.amdhsa_exception_fp_ieee_overflow 0
		.amdhsa_exception_fp_ieee_underflow 0
		.amdhsa_exception_fp_ieee_inexact 0
		.amdhsa_exception_int_div_zero 0
	.end_amdhsa_kernel
	.text
.Lfunc_end0:
	.size	fft_rtc_fwd_len390_factors_13_3_10_wgs_117_tpt_39_sp_op_CI_CI_unitstride_sbrr_C2R_dirReg, .Lfunc_end0-fft_rtc_fwd_len390_factors_13_3_10_wgs_117_tpt_39_sp_op_CI_CI_unitstride_sbrr_C2R_dirReg
                                        ; -- End function
	.section	.AMDGPU.csdata,"",@progbits
; Kernel info:
; codeLenInByte = 8396
; NumSgprs: 29
; NumVgprs: 133
; ScratchSize: 0
; MemoryBound: 0
; FloatMode: 240
; IeeeMode: 1
; LDSByteSize: 0 bytes/workgroup (compile time only)
; SGPRBlocks: 3
; VGPRBlocks: 16
; NumSGPRsForWavesPerEU: 29
; NumVGPRsForWavesPerEU: 133
; Occupancy: 7
; WaveLimiterHint : 1
; COMPUTE_PGM_RSRC2:SCRATCH_EN: 0
; COMPUTE_PGM_RSRC2:USER_SGPR: 6
; COMPUTE_PGM_RSRC2:TRAP_HANDLER: 0
; COMPUTE_PGM_RSRC2:TGID_X_EN: 1
; COMPUTE_PGM_RSRC2:TGID_Y_EN: 0
; COMPUTE_PGM_RSRC2:TGID_Z_EN: 0
; COMPUTE_PGM_RSRC2:TIDIG_COMP_CNT: 0
	.text
	.p2alignl 6, 3214868480
	.fill 48, 4, 3214868480
	.type	__hip_cuid_9ff94861adbb46af,@object ; @__hip_cuid_9ff94861adbb46af
	.section	.bss,"aw",@nobits
	.globl	__hip_cuid_9ff94861adbb46af
__hip_cuid_9ff94861adbb46af:
	.byte	0                               ; 0x0
	.size	__hip_cuid_9ff94861adbb46af, 1

	.ident	"AMD clang version 19.0.0git (https://github.com/RadeonOpenCompute/llvm-project roc-6.4.0 25133 c7fe45cf4b819c5991fe208aaa96edf142730f1d)"
	.section	".note.GNU-stack","",@progbits
	.addrsig
	.addrsig_sym __hip_cuid_9ff94861adbb46af
	.amdgpu_metadata
---
amdhsa.kernels:
  - .args:
      - .actual_access:  read_only
        .address_space:  global
        .offset:         0
        .size:           8
        .value_kind:     global_buffer
      - .offset:         8
        .size:           8
        .value_kind:     by_value
      - .actual_access:  read_only
        .address_space:  global
        .offset:         16
        .size:           8
        .value_kind:     global_buffer
      - .actual_access:  read_only
        .address_space:  global
        .offset:         24
        .size:           8
        .value_kind:     global_buffer
      - .actual_access:  read_only
        .address_space:  global
        .offset:         32
        .size:           8
        .value_kind:     global_buffer
      - .offset:         40
        .size:           8
        .value_kind:     by_value
      - .actual_access:  read_only
        .address_space:  global
        .offset:         48
        .size:           8
        .value_kind:     global_buffer
      - .actual_access:  read_only
        .address_space:  global
        .offset:         56
        .size:           8
        .value_kind:     global_buffer
      - .offset:         64
        .size:           4
        .value_kind:     by_value
      - .actual_access:  read_only
        .address_space:  global
        .offset:         72
        .size:           8
        .value_kind:     global_buffer
      - .actual_access:  read_only
        .address_space:  global
        .offset:         80
        .size:           8
        .value_kind:     global_buffer
      - .actual_access:  read_only
        .address_space:  global
        .offset:         88
        .size:           8
        .value_kind:     global_buffer
      - .actual_access:  write_only
        .address_space:  global
        .offset:         96
        .size:           8
        .value_kind:     global_buffer
    .group_segment_fixed_size: 0
    .kernarg_segment_align: 8
    .kernarg_segment_size: 104
    .language:       OpenCL C
    .language_version:
      - 2
      - 0
    .max_flat_workgroup_size: 117
    .name:           fft_rtc_fwd_len390_factors_13_3_10_wgs_117_tpt_39_sp_op_CI_CI_unitstride_sbrr_C2R_dirReg
    .private_segment_fixed_size: 0
    .sgpr_count:     29
    .sgpr_spill_count: 0
    .symbol:         fft_rtc_fwd_len390_factors_13_3_10_wgs_117_tpt_39_sp_op_CI_CI_unitstride_sbrr_C2R_dirReg.kd
    .uniform_work_group_size: 1
    .uses_dynamic_stack: false
    .vgpr_count:     133
    .vgpr_spill_count: 0
    .wavefront_size: 32
    .workgroup_processor_mode: 1
amdhsa.target:   amdgcn-amd-amdhsa--gfx1030
amdhsa.version:
  - 1
  - 2
...

	.end_amdgpu_metadata
